;; amdgpu-corpus repo=ROCm/rocFFT kind=compiled arch=gfx906 opt=O3
	.text
	.amdgcn_target "amdgcn-amd-amdhsa--gfx906"
	.amdhsa_code_object_version 6
	.protected	fft_rtc_back_len200_factors_5_5_2_4_wgs_400_tpt_20_halfLds_dim3_sp_ip_CI_sbcc_twdbase8_2step_dirReg_intrinsicReadWrite ; -- Begin function fft_rtc_back_len200_factors_5_5_2_4_wgs_400_tpt_20_halfLds_dim3_sp_ip_CI_sbcc_twdbase8_2step_dirReg_intrinsicReadWrite
	.globl	fft_rtc_back_len200_factors_5_5_2_4_wgs_400_tpt_20_halfLds_dim3_sp_ip_CI_sbcc_twdbase8_2step_dirReg_intrinsicReadWrite
	.p2align	8
	.type	fft_rtc_back_len200_factors_5_5_2_4_wgs_400_tpt_20_halfLds_dim3_sp_ip_CI_sbcc_twdbase8_2step_dirReg_intrinsicReadWrite,@function
fft_rtc_back_len200_factors_5_5_2_4_wgs_400_tpt_20_halfLds_dim3_sp_ip_CI_sbcc_twdbase8_2step_dirReg_intrinsicReadWrite: ; @fft_rtc_back_len200_factors_5_5_2_4_wgs_400_tpt_20_halfLds_dim3_sp_ip_CI_sbcc_twdbase8_2step_dirReg_intrinsicReadWrite
; %bb.0:
	s_load_dwordx4 s[0:3], s[4:5], 0x10
	s_mov_b32 s7, 0
	s_mov_b64 s[20:21], 0
	s_waitcnt lgkmcnt(0)
	s_load_dwordx2 s[8:9], s[0:1], 0x8
	s_waitcnt lgkmcnt(0)
	s_add_u32 s10, s8, -1
	s_addc_u32 s11, s9, -1
	s_add_u32 s12, 0, 0xcccc3000
	s_addc_u32 s13, 0, 44
	s_mul_hi_u32 s15, s12, 0xffffffec
	s_add_i32 s13, s13, 0xccccca0
	s_sub_i32 s15, s15, s12
	s_mul_i32 s18, s13, 0xffffffec
	s_mul_i32 s14, s12, 0xffffffec
	s_add_i32 s15, s15, s18
	s_mul_hi_u32 s16, s13, s14
	s_mul_i32 s17, s13, s14
	s_mul_i32 s19, s12, s15
	s_mul_hi_u32 s14, s12, s14
	s_mul_hi_u32 s18, s12, s15
	s_add_u32 s14, s14, s19
	s_addc_u32 s18, 0, s18
	s_add_u32 s14, s14, s17
	s_mul_hi_u32 s19, s13, s15
	s_addc_u32 s14, s18, s16
	s_addc_u32 s16, s19, 0
	s_mul_i32 s15, s13, s15
	s_add_u32 s14, s14, s15
	v_mov_b32_e32 v1, s14
	s_addc_u32 s15, 0, s16
	v_add_co_u32_e32 v1, vcc, s12, v1
	s_cmp_lg_u64 vcc, 0
	s_addc_u32 s12, s13, s15
	v_readfirstlane_b32 s15, v1
	s_mul_i32 s14, s10, s12
	s_mul_hi_u32 s16, s10, s15
	s_mul_hi_u32 s13, s10, s12
	s_add_u32 s14, s16, s14
	s_addc_u32 s13, 0, s13
	s_mul_hi_u32 s17, s11, s15
	s_mul_i32 s15, s11, s15
	s_add_u32 s14, s14, s15
	s_mul_hi_u32 s16, s11, s12
	s_addc_u32 s13, s13, s17
	s_addc_u32 s14, s16, 0
	s_mul_i32 s12, s11, s12
	s_add_u32 s12, s13, s12
	s_addc_u32 s13, 0, s14
	s_add_u32 s14, s12, 1
	s_addc_u32 s15, s13, 0
	s_add_u32 s16, s12, 2
	s_mul_i32 s18, s13, 20
	s_mul_hi_u32 s19, s12, 20
	s_addc_u32 s17, s13, 0
	s_add_i32 s19, s19, s18
	s_mul_i32 s18, s12, 20
	v_mov_b32_e32 v1, s18
	v_sub_co_u32_e32 v1, vcc, s10, v1
	s_cmp_lg_u64 vcc, 0
	s_subb_u32 s10, s11, s19
	v_subrev_co_u32_e32 v2, vcc, 20, v1
	s_cmp_lg_u64 vcc, 0
	s_subb_u32 s11, s10, 0
	v_readfirstlane_b32 s18, v2
	s_cmp_gt_u32 s18, 19
	s_cselect_b32 s18, -1, 0
	s_cmp_eq_u32 s11, 0
	s_cselect_b32 s11, s18, -1
	s_cmp_lg_u32 s11, 0
	s_cselect_b32 s11, s16, s14
	s_cselect_b32 s14, s17, s15
	v_readfirstlane_b32 s15, v1
	s_cmp_gt_u32 s15, 19
	s_cselect_b32 s15, -1, 0
	s_cmp_eq_u32 s10, 0
	s_cselect_b32 s10, s15, -1
	s_cmp_lg_u32 s10, 0
	s_cselect_b32 s11, s11, s12
	s_cselect_b32 s10, s14, s13
	s_add_u32 s14, s11, 1
	s_addc_u32 s15, s10, 0
	v_mov_b32_e32 v1, s14
	v_mov_b32_e32 v2, s15
	v_cmp_lt_u64_e32 vcc, s[6:7], v[1:2]
	s_cbranch_vccnz .LBB0_2
; %bb.1:
	v_cvt_f32_u32_e32 v1, s14
	s_sub_i32 s10, 0, s14
	s_mov_b32 s21, s7
	v_rcp_iflag_f32_e32 v1, v1
	v_mul_f32_e32 v1, 0x4f7ffffe, v1
	v_cvt_u32_f32_e32 v1, v1
	v_readfirstlane_b32 s11, v1
	s_mul_i32 s10, s10, s11
	s_mul_hi_u32 s10, s11, s10
	s_add_i32 s11, s11, s10
	s_mul_hi_u32 s10, s6, s11
	s_mul_i32 s12, s10, s14
	s_sub_i32 s12, s6, s12
	s_add_i32 s11, s10, 1
	s_sub_i32 s13, s12, s14
	s_cmp_ge_u32 s12, s14
	s_cselect_b32 s10, s11, s10
	s_cselect_b32 s12, s13, s12
	s_add_i32 s11, s10, 1
	s_cmp_ge_u32 s12, s14
	s_cselect_b32 s20, s11, s10
.LBB0_2:
	s_load_dwordx2 s[22:23], s[0:1], 0x10
	s_load_dwordx2 s[12:13], s[4:5], 0x50
	;; [unrolled: 1-line block ×3, first 2 shown]
	s_load_dwordx4 s[16:19], s[2:3], 0x0
	s_mov_b64 s[0:1], s[20:21]
	s_waitcnt lgkmcnt(0)
	v_mov_b32_e32 v1, s22
	v_mov_b32_e32 v2, s23
	v_cmp_lt_u64_e32 vcc, s[20:21], v[1:2]
	s_cbranch_vccnz .LBB0_4
; %bb.3:
	v_cvt_f32_u32_e32 v1, s22
	s_sub_i32 s0, 0, s22
	v_rcp_iflag_f32_e32 v1, v1
	v_mul_f32_e32 v1, 0x4f7ffffe, v1
	v_cvt_u32_f32_e32 v1, v1
	v_readfirstlane_b32 s1, v1
	s_mul_i32 s0, s0, s1
	s_mul_hi_u32 s0, s1, s0
	s_add_i32 s1, s1, s0
	s_mul_hi_u32 s0, s20, s1
	s_mul_i32 s0, s0, s22
	s_sub_i32 s0, s20, s0
	s_sub_i32 s1, s0, s22
	s_cmp_ge_u32 s0, s22
	s_cselect_b32 s0, s1, s0
	s_sub_i32 s1, s0, s22
	s_cmp_ge_u32 s0, s22
	s_cselect_b32 s0, s1, s0
.LBB0_4:
	s_mul_i32 s1, s22, s15
	s_mul_hi_u32 s17, s22, s14
	s_add_i32 s1, s17, s1
	s_mul_i32 s17, s23, s14
	s_mul_i32 s24, s22, s14
	s_add_i32 s25, s1, s17
	s_load_dwordx2 s[22:23], s[2:3], 0x10
	v_mov_b32_e32 v1, s24
	v_mov_b32_e32 v2, s25
	v_cmp_lt_u64_e32 vcc, s[6:7], v[1:2]
	s_mov_b64 s[26:27], 0
	s_cbranch_vccnz .LBB0_6
; %bb.5:
	v_cvt_f32_u32_e32 v1, s24
	s_sub_i32 s1, 0, s24
	v_rcp_iflag_f32_e32 v1, v1
	v_mul_f32_e32 v1, 0x4f7ffffe, v1
	v_cvt_u32_f32_e32 v1, v1
	v_readfirstlane_b32 s7, v1
	s_mul_i32 s1, s1, s7
	s_mul_hi_u32 s1, s7, s1
	s_add_i32 s7, s7, s1
	s_mul_hi_u32 s1, s6, s7
	s_mul_i32 s17, s1, s24
	s_sub_i32 s17, s6, s17
	s_add_i32 s7, s1, 1
	s_sub_i32 s19, s17, s24
	s_cmp_ge_u32 s17, s24
	s_cselect_b32 s1, s7, s1
	s_cselect_b32 s17, s19, s17
	s_add_i32 s7, s1, 1
	s_cmp_ge_u32 s17, s24
	s_cselect_b32 s26, s7, s1
.LBB0_6:
	s_mul_i32 s1, s20, s15
	s_mul_hi_u32 s7, s20, s14
	s_load_dword s2, s[2:3], 0x18
	s_add_i32 s7, s7, s1
	s_mul_i32 s1, s20, s14
	s_sub_u32 s1, s6, s1
	v_mul_u32_u24_e32 v1, 0xccd, v0
	s_subb_u32 s6, 0, s7
	s_mul_hi_u32 s7, s1, 20
	s_mul_i32 s1, s1, 20
	v_lshrrev_b32_e32 v15, 16, v1
	s_mul_i32 s6, s6, 20
	s_mul_i32 s3, s18, s1
	s_waitcnt lgkmcnt(0)
	s_mul_i32 s0, s22, s0
	v_mul_lo_u16_e32 v1, 20, v15
	s_add_i32 s6, s7, s6
	s_add_i32 s0, s0, s3
	s_mul_i32 s2, s2, s26
	v_sub_u16_e32 v16, v0, v1
	s_add_i32 s7, s2, s0
	v_mov_b32_e32 v1, s6
	v_add_co_u32_e32 v11, vcc, s1, v16
	v_addc_co_u32_e32 v12, vcc, 0, v1, vcc
	s_add_u32 s0, s1, 20
	v_mad_u64_u32 v[9:10], s[2:3], s18, v16, 0
	v_mov_b32_e32 v1, s8
	s_addc_u32 s1, s6, 0
	v_mul_lo_u32 v3, s16, v15
	v_mov_b32_e32 v2, s9
	v_add_u32_e32 v10, 40, v15
	v_cmp_le_u64_e32 vcc, s[0:1], v[1:2]
	v_mul_lo_u32 v2, s16, v10
	v_cmp_gt_u64_e64 s[0:1], s[8:9], v[11:12]
	v_add_lshl_u32 v1, v9, v3, 3
	s_or_b64 s[2:3], vcc, s[0:1]
	v_add_u32_e32 v12, 0x50, v15
	v_cndmask_b32_e64 v13, -1, v1, s[2:3]
	v_add_lshl_u32 v1, v9, v2, 3
	v_mul_lo_u32 v2, s16, v12
	v_add_u32_e32 v3, 0x78, v15
	v_mul_lo_u32 v3, s16, v3
	v_cndmask_b32_e64 v14, -1, v1, s[2:3]
	v_add_lshl_u32 v1, v9, v2, 3
	v_or_b32_e32 v2, 0xa0, v15
	v_mul_lo_u32 v6, s16, v2
	s_lshl_b32 s17, s7, 3
	s_mov_b32 s15, 0x20000
	s_mov_b32 s14, -2
	v_cndmask_b32_e64 v5, -1, v1, s[2:3]
	v_add_lshl_u32 v1, v9, v3, 3
	v_cndmask_b32_e64 v7, -1, v1, s[2:3]
	buffer_load_dwordx2 v[3:4], v5, s[12:15], s17 offen
	buffer_load_dwordx2 v[1:2], v7, s[12:15], s17 offen
	v_add_lshl_u32 v5, v9, v6, 3
	v_cndmask_b32_e64 v17, -1, v5, s[2:3]
	buffer_load_dwordx2 v[7:8], v14, s[12:15], s17 offen
	buffer_load_dwordx2 v[5:6], v17, s[12:15], s17 offen
	;; [unrolled: 1-line block ×3, first 2 shown]
	v_add_u32_e32 v14, 20, v15
	v_mul_lo_u32 v18, s16, v14
	v_add_u32_e32 v17, 0x64, v15
	v_add_u32_e32 v13, 60, v15
	v_mul_lo_u32 v17, s16, v17
	v_add_lshl_u32 v18, v9, v18, 3
	v_mul_lo_u32 v19, s16, v13
	v_cndmask_b32_e64 v20, -1, v18, s[2:3]
	v_add_u32_e32 v18, 0x8c, v15
	v_mul_lo_u32 v22, s16, v18
	v_add_u32_e32 v18, 0xb4, v15
	v_mul_lo_u32 v23, s16, v18
	v_add_lshl_u32 v17, v9, v17, 3
	v_add_lshl_u32 v19, v9, v19, 3
	v_cndmask_b32_e64 v17, -1, v17, s[2:3]
	v_cndmask_b32_e64 v21, -1, v19, s[2:3]
	buffer_load_dwordx2 v[30:31], v20, s[12:15], s17 offen
	buffer_load_dwordx2 v[18:19], v21, s[12:15], s17 offen
	;; [unrolled: 1-line block ×3, first 2 shown]
	v_add_lshl_u32 v17, v9, v22, 3
	v_cndmask_b32_e64 v17, -1, v17, s[2:3]
	v_add_lshl_u32 v20, v9, v23, 3
	v_cndmask_b32_e64 v20, -1, v20, s[2:3]
	buffer_load_dwordx2 v[34:35], v17, s[12:15], s17 offen
	buffer_load_dwordx2 v[36:37], v20, s[12:15], s17 offen
	v_mul_u32_u24_e32 v20, 0x190, v15
	v_lshlrev_b32_e32 v17, 2, v16
	v_add3_u32 v38, 0, v20, v17
	v_add_u32_e32 v39, 64, v38
	s_movk_i32 s6, 0xfec0
	s_movk_i32 s7, 0x1f40
	v_add_u32_e32 v40, 0x2000, v38
	s_waitcnt vmcnt(8)
	v_add_f32_e32 v22, v3, v1
	s_waitcnt vmcnt(7)
	v_sub_f32_e32 v16, v7, v3
	s_waitcnt vmcnt(6)
	v_sub_f32_e32 v20, v5, v1
	s_waitcnt vmcnt(5)
	v_add_f32_e32 v21, v28, v7
	v_sub_f32_e32 v25, v3, v7
	v_sub_f32_e32 v26, v1, v5
	v_add_f32_e32 v16, v16, v20
	v_add_f32_e32 v20, v21, v3
	v_fma_f32 v21, -0.5, v22, v28
	v_sub_f32_e32 v23, v8, v6
	v_add_f32_e32 v22, v25, v26
	v_mov_b32_e32 v26, v21
	v_sub_f32_e32 v24, v4, v2
	v_fmac_f32_e32 v26, 0xbf737871, v23
	v_fmac_f32_e32 v21, 0x3f737871, v23
	v_fmac_f32_e32 v26, 0xbf167918, v24
	v_fmac_f32_e32 v21, 0x3f167918, v24
	v_add_f32_e32 v27, v7, v5
	v_fmac_f32_e32 v26, 0x3e9e377a, v16
	v_fmac_f32_e32 v21, 0x3e9e377a, v16
	s_waitcnt vmcnt(3)
	v_add_f32_e32 v16, v30, v18
	v_fma_f32 v25, -0.5, v27, v28
	s_waitcnt vmcnt(2)
	v_add_f32_e32 v16, v16, v32
	v_add_f32_e32 v20, v20, v1
	v_mov_b32_e32 v27, v25
	s_waitcnt vmcnt(1)
	v_add_f32_e32 v16, v16, v34
	v_add_f32_e32 v20, v20, v5
	v_fmac_f32_e32 v27, 0x3f737871, v24
	v_fmac_f32_e32 v25, 0xbf737871, v24
	s_waitcnt vmcnt(0)
	v_add_f32_e32 v16, v16, v36
	ds_write2_b32 v38, v20, v26 offset1:20
	v_fmac_f32_e32 v27, 0xbf167918, v23
	v_fmac_f32_e32 v25, 0x3f167918, v23
	ds_write2st64_b32 v39, v21, v16 offset0:1 offset1:31
	v_sub_f32_e32 v16, v18, v32
	v_sub_f32_e32 v20, v36, v34
	v_fmac_f32_e32 v27, 0x3e9e377a, v22
	v_fmac_f32_e32 v25, 0x3e9e377a, v22
	v_add_f32_e32 v16, v16, v20
	v_sub_f32_e32 v20, v32, v18
	v_sub_f32_e32 v21, v34, v36
	ds_write2_b32 v38, v27, v25 offset0:40 offset1:60
	v_add_f32_e32 v20, v20, v21
	v_add_f32_e32 v21, v32, v34
	;; [unrolled: 1-line block ×3, first 2 shown]
	v_fma_f32 v21, -0.5, v21, v30
	v_fma_f32 v25, -0.5, v25, v30
	v_sub_f32_e32 v22, v19, v37
	v_mov_b32_e32 v23, v21
	v_sub_f32_e32 v24, v33, v35
	v_mov_b32_e32 v26, v25
	v_fmac_f32_e32 v23, 0xbf737871, v22
	v_fmac_f32_e32 v26, 0x3f737871, v24
	;; [unrolled: 1-line block ×12, first 2 shown]
	v_sub_f32_e32 v16, v19, v33
	v_sub_f32_e32 v20, v37, v35
	v_add_f32_e32 v41, v16, v20
	v_add_f32_e32 v16, v33, v35
	v_fma_f32 v42, -0.5, v16, v31
	v_add_f32_e32 v16, v19, v37
	v_add_f32_e32 v43, v31, v19
	v_fmac_f32_e32 v31, -0.5, v16
	v_sub_f32_e32 v36, v18, v36
	v_sub_f32_e32 v32, v32, v34
	v_sub_f32_e32 v16, v33, v19
	v_sub_f32_e32 v18, v35, v37
	v_mov_b32_e32 v45, v42
	v_fmac_f32_e32 v42, 0xbf737871, v36
	v_mov_b32_e32 v34, v31
	v_fmac_f32_e32 v31, 0x3f737871, v32
	v_add_f32_e32 v44, v16, v18
	v_fmac_f32_e32 v42, 0xbf167918, v32
	v_fmac_f32_e32 v31, 0xbf167918, v36
	v_mul_i32_i24_e32 v16, 0xfffffec0, v14
	v_add_u32_e32 v30, 0x1c00, v38
	v_fmac_f32_e32 v42, 0x3e9e377a, v41
	v_fmac_f32_e32 v31, 0x3e9e377a, v44
	v_add3_u32 v18, v38, s7, v16
	v_mad_i32_i24 v16, v15, s6, v38
	ds_write2_b32 v30, v23, v26 offset0:228 offset1:248
	ds_write2_b32 v40, v25, v21 offset0:12 offset1:32
	s_waitcnt lgkmcnt(0)
	s_barrier
	ds_read_b32 v20, v16
	ds_read_b32 v27, v16 offset:3200
	ds_read_b32 v24, v16 offset:12800
	ds_read_b32 v21, v16 offset:11200
	ds_read_b32 v26, v16 offset:9600
	ds_read_b32 v23, v16 offset:8000
	ds_read_b32 v28, v16 offset:6400
	ds_read_b32 v25, v16 offset:4800
	ds_read_b32 v19, v18
	ds_read_b32 v22, v16 offset:14400
	s_waitcnt lgkmcnt(0)
	s_barrier
	ds_write2_b32 v40, v31, v42 offset0:12 offset1:32
	v_add_f32_e32 v31, v4, v2
	v_add_f32_e32 v42, v8, v6
	v_fma_f32 v31, -0.5, v31, v29
	v_add_f32_e32 v40, v29, v8
	v_fmac_f32_e32 v29, -0.5, v42
	v_sub_f32_e32 v1, v3, v1
	v_mov_b32_e32 v3, v29
	v_sub_f32_e32 v42, v4, v8
	v_sub_f32_e32 v46, v2, v6
	v_fmac_f32_e32 v3, 0xbf737871, v1
	v_sub_f32_e32 v5, v7, v5
	v_fmac_f32_e32 v29, 0x3f737871, v1
	v_add_f32_e32 v42, v42, v46
	v_fmac_f32_e32 v3, 0x3f167918, v5
	v_fmac_f32_e32 v29, 0xbf167918, v5
	;; [unrolled: 1-line block ×4, first 2 shown]
	ds_write2_b32 v38, v3, v29 offset0:40 offset1:60
	v_sub_f32_e32 v3, v8, v4
	v_add_f32_e32 v4, v40, v4
	v_add_f32_e32 v4, v4, v2
	v_sub_f32_e32 v2, v6, v2
	v_add_f32_e32 v2, v3, v2
	v_mov_b32_e32 v3, v31
	v_fmac_f32_e32 v3, 0x3f737871, v5
	v_fmac_f32_e32 v31, 0xbf737871, v5
	;; [unrolled: 1-line block ×4, first 2 shown]
	v_mul_lo_u16_e32 v1, 52, v15
	v_add_f32_e32 v4, v4, v6
	v_fmac_f32_e32 v3, 0x3e9e377a, v2
	v_fmac_f32_e32 v45, 0x3f737871, v36
	;; [unrolled: 1-line block ×3, first 2 shown]
	v_lshrrev_b16_e32 v29, 8, v1
	ds_write2_b32 v38, v4, v3 offset1:20
	v_add_f32_e32 v3, v43, v33
	v_fmac_f32_e32 v45, 0x3f167918, v32
	v_fmac_f32_e32 v34, 0x3f167918, v36
	v_mul_lo_u16_e32 v1, 5, v29
	v_add_f32_e32 v3, v3, v35
	v_fmac_f32_e32 v45, 0x3e9e377a, v41
	v_fmac_f32_e32 v34, 0x3e9e377a, v44
	v_sub_u16_e32 v1, v15, v1
	v_add_f32_e32 v3, v3, v37
	v_fmac_f32_e32 v31, 0x3e9e377a, v2
	ds_write2_b32 v30, v45, v34 offset0:228 offset1:248
	v_and_b32_e32 v30, 0xff, v1
	ds_write2st64_b32 v39, v31, v3 offset0:1 offset1:31
	v_lshlrev_b32_e32 v31, 5, v30
	s_waitcnt lgkmcnt(0)
	s_barrier
	global_load_dwordx4 v[1:4], v31, s[10:11]
	global_load_dwordx4 v[5:8], v31, s[10:11] offset:16
	v_mul_lo_u16_e32 v31, 0x67, v14
	v_lshrrev_b16_e32 v31, 9, v31
	v_mul_lo_u16_e32 v32, 5, v31
	v_sub_u16_e32 v32, v14, v32
	v_and_b32_e32 v32, 0xff, v32
	v_lshlrev_b32_e32 v41, 5, v32
	global_load_dwordx4 v[33:36], v41, s[10:11]
	global_load_dwordx4 v[37:40], v41, s[10:11] offset:16
	ds_read_b32 v41, v16 offset:3200
	ds_read_b32 v42, v16 offset:12800
	;; [unrolled: 1-line block ×7, first 2 shown]
	ds_read_b32 v48, v16
	s_movk_i32 s6, 0x50
	s_waitcnt vmcnt(3) lgkmcnt(7)
	v_mul_f32_e32 v49, v41, v2
	v_mul_f32_e32 v2, v27, v2
	v_fmac_f32_e32 v49, v27, v1
	v_fma_f32 v1, v41, v1, -v2
	s_waitcnt lgkmcnt(2)
	v_mul_f32_e32 v2, v46, v4
	v_mul_f32_e32 v4, v28, v4
	v_fmac_f32_e32 v2, v28, v3
	v_fma_f32 v3, v46, v3, -v4
	s_waitcnt vmcnt(2)
	v_mul_f32_e32 v4, v44, v6
	v_fmac_f32_e32 v4, v26, v5
	v_mul_f32_e32 v6, v26, v6
	ds_read_b32 v26, v16 offset:14400
	v_fma_f32 v5, v44, v5, -v6
	v_mul_f32_e32 v6, v42, v8
	v_mul_f32_e32 v8, v24, v8
	v_fmac_f32_e32 v6, v24, v7
	v_fma_f32 v7, v42, v7, -v8
	s_waitcnt vmcnt(1) lgkmcnt(2)
	v_mul_f32_e32 v8, v47, v34
	v_mul_f32_e32 v24, v25, v34
	v_fmac_f32_e32 v8, v25, v33
	v_fma_f32 v24, v47, v33, -v24
	v_mul_f32_e32 v25, v45, v36
	s_waitcnt vmcnt(0)
	v_mul_f32_e32 v33, v43, v38
	v_fmac_f32_e32 v25, v23, v35
	v_mul_f32_e32 v23, v23, v36
	v_fmac_f32_e32 v33, v21, v37
	v_mul_f32_e32 v21, v21, v38
	v_fma_f32 v23, v45, v35, -v23
	ds_read_b32 v35, v18
	v_fma_f32 v34, v43, v37, -v21
	s_waitcnt lgkmcnt(1)
	v_mul_f32_e32 v36, v26, v40
	v_mul_f32_e32 v21, v22, v40
	v_add_f32_e32 v28, v2, v4
	v_fmac_f32_e32 v36, v22, v39
	v_fma_f32 v22, v26, v39, -v21
	v_sub_f32_e32 v21, v49, v2
	v_sub_f32_e32 v26, v6, v4
	v_fma_f32 v28, -0.5, v28, v20
	v_add_f32_e32 v21, v21, v26
	v_mad_u32_u24 v26, v29, 25, v30
	v_add_f32_e32 v27, v20, v49
	v_sub_f32_e32 v29, v1, v7
	v_mov_b32_e32 v30, v28
	v_add_f32_e32 v27, v27, v2
	v_fmac_f32_e32 v30, 0xbf737871, v29
	v_sub_f32_e32 v37, v3, v5
	v_add_f32_e32 v27, v27, v4
	v_fmac_f32_e32 v30, 0xbf167918, v37
	v_mul_u32_u24_e32 v26, 0x50, v26
	v_add_f32_e32 v27, v27, v6
	v_fmac_f32_e32 v30, 0x3e9e377a, v21
	v_add3_u32 v38, 0, v26, v17
	v_add_f32_e32 v26, v49, v6
	s_waitcnt lgkmcnt(0)
	s_barrier
	ds_write2_b32 v38, v27, v30 offset1:100
	v_fmac_f32_e32 v20, -0.5, v26
	v_sub_f32_e32 v26, v2, v49
	v_sub_f32_e32 v27, v4, v6
	v_add_f32_e32 v26, v26, v27
	v_mov_b32_e32 v27, v20
	v_fmac_f32_e32 v27, 0x3f737871, v37
	v_fmac_f32_e32 v20, 0xbf737871, v37
	v_fmac_f32_e32 v27, 0xbf167918, v29
	v_fmac_f32_e32 v20, 0x3f167918, v29
	v_fmac_f32_e32 v27, 0x3e9e377a, v26
	v_fmac_f32_e32 v20, 0x3e9e377a, v26
	v_add_u32_e32 v30, 0x200, v38
	v_fmac_f32_e32 v28, 0x3f737871, v29
	ds_write2_b32 v30, v27, v20 offset0:72 offset1:172
	v_fmac_f32_e32 v28, 0x3f167918, v37
	v_add_f32_e32 v27, v25, v33
	v_fmac_f32_e32 v28, 0x3e9e377a, v21
	v_fma_f32 v27, -0.5, v27, v19
	v_sub_f32_e32 v20, v8, v25
	v_sub_f32_e32 v21, v36, v33
	ds_write_b32 v38, v28 offset:1600
	v_add_f32_e32 v26, v19, v8
	v_sub_f32_e32 v28, v24, v22
	v_mov_b32_e32 v29, v27
	v_add_f32_e32 v20, v20, v21
	v_mad_u32_u24 v21, v31, 25, v32
	v_add_f32_e32 v26, v26, v25
	v_fmac_f32_e32 v29, 0xbf737871, v28
	v_sub_f32_e32 v31, v23, v34
	v_add_f32_e32 v26, v26, v33
	v_fmac_f32_e32 v29, 0xbf167918, v31
	v_mul_u32_u24_e32 v21, 0x50, v21
	v_add_f32_e32 v26, v26, v36
	v_fmac_f32_e32 v29, 0x3e9e377a, v20
	v_add3_u32 v32, 0, v21, v17
	v_add_f32_e32 v21, v8, v36
	ds_write2_b32 v32, v26, v29 offset1:100
	v_fmac_f32_e32 v19, -0.5, v21
	v_sub_f32_e32 v21, v25, v8
	v_sub_f32_e32 v26, v33, v36
	v_add_f32_e32 v21, v21, v26
	v_mov_b32_e32 v26, v19
	v_fmac_f32_e32 v26, 0x3f737871, v31
	v_fmac_f32_e32 v19, 0xbf737871, v31
	;; [unrolled: 1-line block ×6, first 2 shown]
	v_add_u32_e32 v37, 0x200, v32
	ds_write2_b32 v37, v26, v19 offset0:72 offset1:172
	v_sub_f32_e32 v2, v2, v4
	v_add_f32_e32 v4, v3, v5
	v_add_f32_e32 v19, v1, v7
	v_fma_f32 v4, -0.5, v4, v48
	v_add_f32_e32 v39, v48, v1
	v_fmac_f32_e32 v48, -0.5, v19
	v_mov_b32_e32 v40, v48
	v_sub_f32_e32 v6, v49, v6
	v_sub_f32_e32 v19, v3, v1
	;; [unrolled: 1-line block ×3, first 2 shown]
	v_fmac_f32_e32 v40, 0xbf737871, v2
	v_fmac_f32_e32 v48, 0x3f737871, v2
	;; [unrolled: 1-line block ×3, first 2 shown]
	v_add_f32_e32 v19, v19, v21
	v_fmac_f32_e32 v40, 0x3f167918, v6
	v_fmac_f32_e32 v48, 0xbf167918, v6
	;; [unrolled: 1-line block ×6, first 2 shown]
	v_mul_u32_u24_e32 v19, 0x50, v13
	ds_write_b32 v32, v27 offset:1600
	s_waitcnt lgkmcnt(0)
	s_barrier
	v_add3_u32 v41, 0, v19, v17
	ds_read_b32 v43, v16
	ds_read_b32 v21, v16 offset:3200
	ds_read_b32 v46, v18
	ds_read_b32 v20, v41
	ds_read_b32 v28, v16 offset:11200
	ds_read_b32 v26, v16 offset:12800
	;; [unrolled: 1-line block ×6, first 2 shown]
	s_waitcnt lgkmcnt(0)
	s_barrier
	ds_write2_b32 v30, v40, v48 offset0:72 offset1:172
	v_add_f32_e32 v30, v39, v3
	v_sub_f32_e32 v1, v1, v3
	v_add_f32_e32 v3, v30, v5
	v_sub_f32_e32 v5, v7, v5
	v_add_f32_e32 v1, v1, v5
	v_mov_b32_e32 v5, v4
	v_fmac_f32_e32 v5, 0x3f737871, v6
	v_fmac_f32_e32 v5, 0x3f167918, v2
	;; [unrolled: 1-line block ×3, first 2 shown]
	v_add_f32_e32 v3, v3, v7
	v_fmac_f32_e32 v5, 0x3e9e377a, v1
	v_fmac_f32_e32 v4, 0xbf167918, v2
	ds_write2_b32 v38, v3, v5 offset1:100
	v_fmac_f32_e32 v4, 0x3e9e377a, v1
	v_add_f32_e32 v3, v23, v34
	v_add_f32_e32 v5, v24, v22
	ds_write_b32 v38, v4 offset:1600
	v_fma_f32 v3, -0.5, v3, v35
	v_add_f32_e32 v4, v35, v24
	v_fmac_f32_e32 v35, -0.5, v5
	v_sub_f32_e32 v5, v23, v24
	v_sub_f32_e32 v6, v34, v22
	;; [unrolled: 1-line block ×3, first 2 shown]
	v_add_f32_e32 v5, v5, v6
	v_mov_b32_e32 v6, v35
	v_sub_f32_e32 v1, v8, v36
	v_fmac_f32_e32 v6, 0xbf737871, v2
	v_fmac_f32_e32 v35, 0x3f737871, v2
	v_fmac_f32_e32 v6, 0x3f167918, v1
	v_fmac_f32_e32 v35, 0xbf167918, v1
	v_fmac_f32_e32 v6, 0x3e9e377a, v5
	v_fmac_f32_e32 v35, 0x3e9e377a, v5
	ds_write2_b32 v37, v6, v35 offset0:72 offset1:172
	v_sub_f32_e32 v5, v24, v23
	v_sub_f32_e32 v6, v22, v34
	v_add_f32_e32 v4, v4, v23
	v_add_f32_e32 v5, v5, v6
	v_mov_b32_e32 v6, v3
	v_add_f32_e32 v4, v4, v34
	v_fmac_f32_e32 v6, 0x3f737871, v1
	v_fmac_f32_e32 v3, 0xbf737871, v1
	v_mul_lo_u16_e32 v1, 21, v15
	v_add_f32_e32 v4, v4, v22
	v_fmac_f32_e32 v3, 0xbf167918, v2
	v_lshrrev_b16_e32 v22, 9, v1
	v_fmac_f32_e32 v3, 0x3e9e377a, v5
	v_mul_lo_u16_e32 v1, 25, v22
	v_fmac_f32_e32 v6, 0x3f167918, v2
	ds_write_b32 v32, v3 offset:1600
	v_sub_u16_e32 v23, v15, v1
	v_mov_b32_e32 v1, 3
	v_mul_lo_u16_e32 v3, 41, v14
	v_fmac_f32_e32 v6, 0x3e9e377a, v5
	v_lshlrev_b32_sdwa v1, v1, v23 dst_sel:DWORD dst_unused:UNUSED_PAD src0_sel:DWORD src1_sel:BYTE_0
	v_lshrrev_b16_e32 v24, 10, v3
	ds_write2_b32 v32, v4, v6 offset1:100
	s_waitcnt lgkmcnt(0)
	s_barrier
	global_load_dwordx2 v[1:2], v1, s[10:11] offset:160
	v_mul_lo_u16_e32 v3, 25, v24
	v_sub_u16_e32 v3, v14, v3
	v_and_b32_e32 v25, 0xff, v3
	v_mul_lo_u16_e32 v5, 41, v10
	v_lshlrev_b32_e32 v3, 3, v25
	global_load_dwordx2 v[3:4], v3, s[10:11] offset:160
	v_lshrrev_b16_e32 v30, 10, v5
	v_mul_lo_u16_e32 v5, 25, v30
	v_sub_u16_e32 v5, v10, v5
	v_mul_lo_u16_e32 v7, 41, v13
	v_and_b32_e32 v32, 0xff, v5
	v_lshrrev_b16_e32 v33, 10, v7
	v_lshlrev_b32_e32 v5, 3, v32
	global_load_dwordx2 v[5:6], v5, s[10:11] offset:160
	v_mul_lo_u16_e32 v7, 25, v33
	v_sub_u16_e32 v7, v13, v7
	v_and_b32_e32 v34, 0xff, v7
	v_lshlrev_b32_e32 v7, 3, v34
	global_load_dwordx2 v[7:8], v7, s[10:11] offset:160
	v_mul_lo_u16_e32 v13, 41, v12
	v_lshrrev_b16_e32 v49, 10, v13
	v_mul_lo_u16_e32 v13, 25, v49
	v_sub_u16_e32 v12, v12, v13
	v_and_b32_e32 v50, 0xff, v12
	v_lshlrev_b32_e32 v12, 3, v50
	global_load_dwordx2 v[12:13], v12, s[10:11] offset:160
	v_mad_legacy_u16 v22, v22, 50, v23
	ds_read_b32 v44, v16 offset:8000
	ds_read_b32 v42, v16 offset:9600
	;; [unrolled: 1-line block ×6, first 2 shown]
	v_mul_u32_u24_sdwa v22, v22, s6 dst_sel:DWORD dst_unused:UNUSED_PAD src0_sel:BYTE_0 src1_sel:DWORD
	v_add3_u32 v37, 0, v22, v17
	v_mad_u32_u24 v22, v24, 50, v25
	v_mul_u32_u24_e32 v22, 0x50, v22
	s_movk_i32 s6, 0xc8
	v_cmp_gt_u32_e64 s[6:7], s6, v0
	s_waitcnt vmcnt(4) lgkmcnt(5)
	v_mul_f32_e32 v23, v44, v2
	v_fmac_f32_e32 v23, v31, v1
	v_sub_f32_e32 v23, v43, v23
	v_fma_f32 v47, v43, 2.0, -v23
	ds_read_b32 v36, v41
	ds_read_b32 v41, v18
	;; [unrolled: 1-line block ×3, first 2 shown]
	ds_read_b32 v43, v16 offset:3200
	s_waitcnt vmcnt(0) lgkmcnt(0)
	s_barrier
	ds_write_b32 v37, v47
	ds_write_b32 v37, v23 offset:2000
	v_mul_f32_e32 v23, v42, v4
	v_fmac_f32_e32 v23, v29, v3
	v_sub_f32_e32 v23, v46, v23
	v_fma_f32 v24, v46, 2.0, -v23
	v_add3_u32 v46, 0, v22, v17
	ds_write_b32 v46, v24
	ds_write_b32 v46, v23 offset:2000
	v_mul_f32_e32 v23, v40, v6
	v_mad_u32_u24 v22, v30, 50, v32
	v_fmac_f32_e32 v23, v28, v5
	v_sub_f32_e32 v23, v21, v23
	v_mul_u32_u24_e32 v22, 0x50, v22
	v_fma_f32 v21, v21, 2.0, -v23
	v_add3_u32 v47, 0, v22, v17
	v_mul_f32_e32 v22, v39, v8
	ds_write_b32 v47, v21
	ds_write_b32 v47, v23 offset:2000
	v_mad_u32_u24 v21, v33, 50, v34
	v_fmac_f32_e32 v22, v26, v7
	v_sub_f32_e32 v22, v20, v22
	v_mul_u32_u24_e32 v21, 0x50, v21
	v_fma_f32 v20, v20, 2.0, -v22
	v_add3_u32 v48, 0, v21, v17
	ds_write_b32 v48, v20
	ds_write_b32 v48, v22 offset:2000
	v_mad_u32_u24 v20, v49, 50, v50
	v_mul_u32_u24_e32 v20, 0x50, v20
	v_add3_u32 v49, 0, v20, v17
	v_mul_f32_e32 v17, v38, v13
	v_fmac_f32_e32 v17, v27, v12
	v_sub_f32_e32 v21, v19, v17
	v_fma_f32 v17, v19, 2.0, -v21
	ds_write_b32 v49, v17
	ds_write_b32 v49, v21 offset:2000
	s_waitcnt lgkmcnt(0)
	s_barrier
	ds_read_b32 v20, v16
	ds_read_b32 v33, v16 offset:4000
	ds_read_b32 v19, v18
	ds_read_b32 v24, v16 offset:13600
	ds_read_b32 v25, v16 offset:12000
	;; [unrolled: 1-line block ×5, first 2 shown]
	v_add_u32_e32 v50, 0xc80, v16
                                        ; implicit-def: $vgpr23
                                        ; implicit-def: $vgpr22
	s_and_saveexec_b64 s[8:9], s[6:7]
	s_cbranch_execz .LBB0_8
; %bb.7:
	ds_read_b32 v21, v16 offset:7200
	ds_read_b32 v23, v16 offset:11200
	ds_read_b32 v17, v50
	ds_read_b32 v22, v16 offset:15200
.LBB0_8:
	s_or_b64 exec, exec, s[8:9]
	v_mul_f32_e32 v2, v31, v2
	v_fma_f32 v1, v44, v1, -v2
	v_mul_f32_e32 v2, v29, v4
	v_fma_f32 v2, v42, v3, -v2
	v_mul_f32_e32 v3, v28, v6
	v_mul_f32_e32 v4, v26, v8
	v_fma_f32 v3, v40, v5, -v3
	v_fma_f32 v4, v39, v7, -v4
	v_mul_f32_e32 v5, v27, v13
	v_fma_f32 v5, v38, v12, -v5
	v_sub_f32_e32 v1, v45, v1
	v_sub_f32_e32 v4, v36, v4
	v_fma_f32 v6, v45, 2.0, -v1
	v_sub_f32_e32 v2, v41, v2
	v_sub_f32_e32 v12, v43, v3
	v_fma_f32 v26, v36, 2.0, -v4
	v_sub_f32_e32 v3, v35, v5
	v_fma_f32 v7, v41, 2.0, -v2
	v_fma_f32 v13, v43, 2.0, -v12
	;; [unrolled: 1-line block ×3, first 2 shown]
	s_waitcnt lgkmcnt(0)
	s_barrier
	ds_write_b32 v37, v6
	ds_write_b32 v37, v1 offset:2000
	ds_write_b32 v46, v7
	ds_write_b32 v46, v2 offset:2000
	;; [unrolled: 2-line block ×5, first 2 shown]
	s_waitcnt lgkmcnt(0)
	s_barrier
	ds_read_b32 v2, v16
	ds_read_b32 v28, v16 offset:4000
	ds_read_b32 v1, v18
	ds_read_b32 v6, v16 offset:13600
	ds_read_b32 v18, v16 offset:12000
	;; [unrolled: 1-line block ×5, first 2 shown]
                                        ; implicit-def: $vgpr5
                                        ; implicit-def: $vgpr4
	s_and_saveexec_b64 s[8:9], s[6:7]
	s_cbranch_execz .LBB0_10
; %bb.9:
	ds_read_b32 v3, v16 offset:7200
	ds_read_b32 v5, v16 offset:11200
	ds_read_b32 v8, v50
	ds_read_b32 v4, v16 offset:15200
.LBB0_10:
	s_or_b64 exec, exec, s[8:9]
	s_movk_i32 s8, 0x3e8
	v_subrev_u32_e32 v7, 50, v15
	v_cmp_gt_u32_e64 s[8:9], s8, v0
	v_cndmask_b32_e64 v7, v7, v15, s[8:9]
	v_mul_i32_i24_e32 v43, 3, v7
	v_mov_b32_e32 v44, 0
	v_lshlrev_b64 v[12:13], 3, v[43:44]
	v_mov_b32_e32 v31, s11
	v_add_co_u32_e64 v45, s[8:9], s10, v12
	v_addc_co_u32_e64 v46, s[8:9], v31, v13, s[8:9]
	global_load_dwordx4 v[35:38], v[45:46], off offset:360
	s_movk_i32 s8, 0x258
	v_subrev_u32_e32 v12, 30, v15
	v_cmp_gt_u32_e64 s[8:9], s8, v0
	v_cndmask_b32_e64 v13, v12, v14, s[8:9]
	v_mul_i32_i24_e32 v43, 3, v13
	v_lshlrev_b64 v[39:40], 3, v[43:44]
	v_add_u32_e32 v12, -10, v15
	v_add_co_u32_e64 v47, s[8:9], s10, v39
	v_addc_co_u32_e64 v48, s[8:9], v31, v40, s[8:9]
	global_load_dwordx4 v[39:42], v[47:48], off offset:360
	global_load_dwordx2 v[49:50], v[45:46], off offset:376
	v_cndmask_b32_e64 v12, v12, v10, s[6:7]
	v_mul_i32_i24_e32 v43, 3, v12
	v_lshlrev_b64 v[15:16], 3, v[43:44]
	global_load_dwordx2 v[47:48], v[47:48], off offset:376
	v_add_co_u32_e64 v15, s[6:7], s10, v15
	v_addc_co_u32_e64 v16, s[6:7], v31, v16, s[6:7]
	global_load_dwordx4 v[43:46], v[15:16], off offset:360
	global_load_dwordx2 v[51:52], v[15:16], off offset:376
	s_load_dwordx2 s[4:5], s[4:5], 0x8
	v_mul_lo_u32 v16, v11, v7
	v_add_u32_e32 v31, 50, v7
	v_mov_b32_e32 v15, 3
	v_mul_lo_u32 v31, v11, v31
	v_lshlrev_b32_sdwa v55, v15, v16 dst_sel:DWORD dst_unused:UNUSED_PAD src0_sel:DWORD src1_sel:BYTE_0
	v_lshlrev_b32_sdwa v16, v15, v16 dst_sel:DWORD dst_unused:UNUSED_PAD src0_sel:DWORD src1_sel:BYTE_1
	v_add_u32_e32 v53, 0x64, v7
	v_mul_lo_u32 v53, v11, v53
	v_add_u32_e32 v54, 0x96, v7
	v_mul_lo_u32 v54, v11, v54
	s_movk_i32 s6, 0xc8
	s_waitcnt vmcnt(5) lgkmcnt(0)
	v_mul_f32_e32 v56, v28, v36
	v_mul_f32_e32 v36, v33, v36
	;; [unrolled: 1-line block ×3, first 2 shown]
	v_fma_f32 v58, v28, v35, -v36
	v_mul_f32_e32 v28, v34, v38
	v_fmac_f32_e32 v56, v33, v35
	v_fmac_f32_e32 v57, v34, v37
	v_fma_f32 v59, v29, v37, -v28
	global_load_dwordx2 v[28:29], v55, s[4:5]
	global_load_dwordx2 v[33:34], v16, s[4:5] offset:2048
	v_lshlrev_b32_sdwa v16, v15, v31 dst_sel:DWORD dst_unused:UNUSED_PAD src0_sel:DWORD src1_sel:BYTE_0
	v_lshlrev_b32_sdwa v31, v15, v31 dst_sel:DWORD dst_unused:UNUSED_PAD src0_sel:DWORD src1_sel:BYTE_1
	global_load_dwordx2 v[35:36], v16, s[4:5]
	global_load_dwordx2 v[37:38], v31, s[4:5] offset:2048
	s_waitcnt vmcnt(8)
	v_mul_f32_e32 v16, v27, v40
	v_mul_f32_e32 v31, v32, v40
	v_fmac_f32_e32 v16, v32, v39
	v_fma_f32 v32, v27, v39, -v31
	v_mul_f32_e32 v55, v26, v42
	v_mul_f32_e32 v27, v30, v42
	v_lshlrev_b32_sdwa v39, v15, v53 dst_sel:DWORD dst_unused:UNUSED_PAD src0_sel:DWORD src1_sel:BYTE_0
	v_fmac_f32_e32 v55, v30, v41
	v_fma_f32 v60, v26, v41, -v27
	v_lshlrev_b32_sdwa v40, v15, v53 dst_sel:DWORD dst_unused:UNUSED_PAD src0_sel:DWORD src1_sel:BYTE_1
	global_load_dwordx2 v[26:27], v39, s[4:5]
	global_load_dwordx2 v[30:31], v40, s[4:5] offset:2048
	s_waitcnt vmcnt(9)
	v_mul_f32_e32 v61, v18, v50
	v_fmac_f32_e32 v61, v25, v49
	v_mul_f32_e32 v25, v25, v50
	v_fma_f32 v18, v18, v49, -v25
	s_waitcnt vmcnt(8)
	v_mul_f32_e32 v25, v6, v48
	v_fmac_f32_e32 v25, v24, v47
	v_mul_f32_e32 v24, v24, v48
	v_lshlrev_b32_sdwa v53, v15, v54 dst_sel:DWORD dst_unused:UNUSED_PAD src0_sel:DWORD src1_sel:BYTE_0
	v_fma_f32 v6, v6, v47, -v24
	s_waitcnt vmcnt(7)
	v_mul_f32_e32 v24, v21, v44
	v_lshlrev_b32_sdwa v54, v15, v54 dst_sel:DWORD dst_unused:UNUSED_PAD src0_sel:DWORD src1_sel:BYTE_1
	global_load_dwordx2 v[39:40], v53, s[4:5]
	global_load_dwordx2 v[41:42], v54, s[4:5] offset:2048
	v_mul_f32_e32 v47, v3, v44
	v_fma_f32 v49, v3, v43, -v24
	v_mul_lo_u32 v3, v11, v13
	v_fmac_f32_e32 v47, v21, v43
	v_mul_f32_e32 v21, v23, v46
	v_mul_f32_e32 v48, v5, v46
	v_fma_f32 v50, v5, v45, -v21
	v_lshlrev_b32_sdwa v5, v15, v3 dst_sel:DWORD dst_unused:UNUSED_PAD src0_sel:DWORD src1_sel:BYTE_0
	v_fmac_f32_e32 v48, v23, v45
	v_lshlrev_b32_sdwa v3, v15, v3 dst_sel:DWORD dst_unused:UNUSED_PAD src0_sel:DWORD src1_sel:BYTE_1
	global_load_dwordx2 v[23:24], v5, s[4:5]
	global_load_dwordx2 v[43:44], v3, s[4:5] offset:2048
	s_waitcnt vmcnt(10)
	v_mul_f32_e32 v53, v4, v52
	v_mul_f32_e32 v3, v22, v52
	v_fmac_f32_e32 v53, v22, v51
	v_fma_f32 v51, v4, v51, -v3
	v_sub_f32_e32 v3, v20, v57
	v_sub_f32_e32 v18, v58, v18
	;; [unrolled: 1-line block ×3, first 2 shown]
	v_fma_f32 v5, v20, 2.0, -v3
	v_sub_f32_e32 v20, v56, v61
	v_add_f32_e32 v46, v3, v18
	v_sub_f32_e32 v54, v19, v55
	v_sub_f32_e32 v55, v1, v60
	;; [unrolled: 1-line block ×3, first 2 shown]
	v_fma_f32 v2, v2, 2.0, -v4
	v_fma_f32 v21, v56, 2.0, -v20
	;; [unrolled: 1-line block ×5, first 2 shown]
	v_sub_f32_e32 v58, v16, v25
	v_fma_f32 v3, v32, 2.0, -v59
	v_sub_f32_e32 v21, v5, v21
	v_sub_f32_e32 v22, v2, v22
	v_fma_f32 v56, v19, 2.0, -v54
	v_fma_f32 v1, v16, 2.0, -v58
	v_sub_f32_e32 v61, v57, v3
	v_fma_f32 v45, v5, 2.0, -v21
	v_fma_f32 v2, v2, 2.0, -v22
	v_sub_f32_e32 v60, v56, v1
	v_sub_f32_e32 v52, v4, v20
	v_fma_f32 v4, v4, 2.0, -v52
	v_sub_f32_e32 v48, v17, v48
	v_sub_f32_e32 v53, v47, v53
	v_fma_f32 v17, v17, 2.0, -v48
	v_fma_f32 v47, v47, 2.0, -v53
	v_sub_f32_e32 v47, v17, v47
	v_sub_f32_e32 v50, v8, v50
	;; [unrolled: 1-line block ×3, first 2 shown]
	v_fma_f32 v8, v8, 2.0, -v50
	v_fma_f32 v49, v49, 2.0, -v51
	v_sub_f32_e32 v49, v8, v49
	v_fma_f32 v8, v8, 2.0, -v49
	v_add_f32_e32 v51, v48, v51
	s_waitcnt vmcnt(8)
	v_mul_f32_e32 v3, v28, v34
	v_mul_f32_e32 v1, v29, v34
	v_fmac_f32_e32 v3, v29, v33
	v_fma_f32 v1, v28, v33, -v1
	v_mul_f32_e32 v5, v2, v3
	v_mul_f32_e32 v3, v45, v3
	v_fma_f32 v6, v2, v1, -v3
	s_waitcnt vmcnt(6)
	v_mul_f32_e32 v2, v35, v38
	v_fmac_f32_e32 v5, v45, v1
	v_mul_f32_e32 v1, v36, v38
	v_fmac_f32_e32 v2, v36, v37
	v_fma_f32 v1, v35, v37, -v1
	v_mul_f32_e32 v3, v4, v2
	v_fmac_f32_e32 v3, v18, v1
	v_mul_f32_e32 v2, v18, v2
	v_add_u32_e32 v18, 50, v13
	v_mul_lo_u32 v18, v11, v18
	s_waitcnt vmcnt(4)
	v_mul_f32_e32 v16, v26, v31
	v_fma_f32 v4, v4, v1, -v2
	v_mul_f32_e32 v1, v27, v31
	v_fmac_f32_e32 v16, v27, v30
	v_fma_f32 v2, v26, v30, -v1
	v_mul_f32_e32 v1, v22, v16
	v_mul_f32_e32 v16, v21, v16
	v_fmac_f32_e32 v1, v21, v2
	v_fma_f32 v2, v22, v2, -v16
	v_lshlrev_b32_sdwa v22, v15, v18 dst_sel:DWORD dst_unused:UNUSED_PAD src0_sel:DWORD src1_sel:BYTE_0
	v_lshlrev_b32_sdwa v25, v15, v18 dst_sel:DWORD dst_unused:UNUSED_PAD src0_sel:DWORD src1_sel:BYTE_1
	v_add_u32_e32 v18, 0x64, v13
	v_add_u32_e32 v13, 0x96, v13
	v_mul_lo_u32 v26, v11, v18
	v_mul_lo_u32 v13, v11, v13
	s_waitcnt vmcnt(2)
	v_mul_f32_e32 v29, v39, v42
	v_mul_f32_e32 v16, v40, v42
	global_load_dwordx2 v[18:19], v22, s[4:5]
	global_load_dwordx2 v[20:21], v25, s[4:5] offset:2048
	v_fmac_f32_e32 v29, v40, v41
	v_lshlrev_b32_sdwa v22, v15, v26 dst_sel:DWORD dst_unused:UNUSED_PAD src0_sel:DWORD src1_sel:BYTE_0
	v_lshlrev_b32_sdwa v30, v15, v26 dst_sel:DWORD dst_unused:UNUSED_PAD src0_sel:DWORD src1_sel:BYTE_1
	v_lshlrev_b32_sdwa v33, v15, v13 dst_sel:DWORD dst_unused:UNUSED_PAD src0_sel:DWORD src1_sel:BYTE_0
	v_fma_f32 v16, v39, v41, -v16
	global_load_dwordx2 v[25:26], v22, s[4:5]
	global_load_dwordx2 v[27:28], v30, s[4:5] offset:2048
	v_mul_f32_e32 v22, v52, v29
	v_mul_f32_e32 v41, v46, v29
	v_lshlrev_b32_sdwa v13, v15, v13 dst_sel:DWORD dst_unused:UNUSED_PAD src0_sel:DWORD src1_sel:BYTE_1
	v_mul_lo_u32 v34, v11, v12
	global_load_dwordx2 v[29:30], v33, s[4:5]
	global_load_dwordx2 v[31:32], v13, s[4:5] offset:2048
	v_add_u32_e32 v33, 50, v12
	v_mul_lo_u32 v38, v11, v33
	s_waitcnt vmcnt(6)
	v_mul_f32_e32 v13, v24, v44
	v_fma_f32 v62, v23, v43, -v13
	v_lshlrev_b32_sdwa v13, v15, v34 dst_sel:DWORD dst_unused:UNUSED_PAD src0_sel:DWORD src1_sel:BYTE_0
	v_lshlrev_b32_sdwa v37, v15, v34 dst_sel:DWORD dst_unused:UNUSED_PAD src0_sel:DWORD src1_sel:BYTE_1
	global_load_dwordx2 v[33:34], v13, s[4:5]
	global_load_dwordx2 v[35:36], v37, s[4:5] offset:2048
	v_lshlrev_b32_sdwa v13, v15, v38 dst_sel:DWORD dst_unused:UNUSED_PAD src0_sel:DWORD src1_sel:BYTE_0
	v_mul_f32_e32 v44, v23, v44
	v_lshlrev_b32_sdwa v23, v15, v38 dst_sel:DWORD dst_unused:UNUSED_PAD src0_sel:DWORD src1_sel:BYTE_1
	global_load_dwordx2 v[37:38], v13, s[4:5]
	global_load_dwordx2 v[39:40], v23, s[4:5] offset:2048
	v_add_u32_e32 v13, 0x64, v12
	v_mul_lo_u32 v13, v11, v13
	v_fmac_f32_e32 v22, v46, v16
	v_add_u32_e32 v46, 0x96, v12
	v_mul_lo_u32 v11, v11, v46
	v_fma_f32 v23, v52, v16, -v41
	v_lshlrev_b32_sdwa v16, v15, v13 dst_sel:DWORD dst_unused:UNUSED_PAD src0_sel:DWORD src1_sel:BYTE_0
	v_fmac_f32_e32 v44, v24, v43
	v_lshlrev_b32_sdwa v43, v15, v13 dst_sel:DWORD dst_unused:UNUSED_PAD src0_sel:DWORD src1_sel:BYTE_1
	global_load_dwordx2 v[12:13], v16, s[4:5]
	global_load_dwordx2 v[41:42], v43, s[4:5] offset:2048
	v_fma_f32 v24, v56, 2.0, -v60
	v_fma_f32 v45, v57, 2.0, -v61
	v_mul_f32_e32 v16, v24, v44
	v_lshlrev_b32_sdwa v52, v15, v11 dst_sel:DWORD dst_unused:UNUSED_PAD src0_sel:DWORD src1_sel:BYTE_0
	v_mul_f32_e32 v43, v45, v44
	v_fma_f32 v44, v45, v62, -v16
	v_lshlrev_b32_sdwa v11, v15, v11 dst_sel:DWORD dst_unused:UNUSED_PAD src0_sel:DWORD src1_sel:BYTE_1
	global_load_dwordx2 v[15:16], v52, s[4:5]
	global_load_dwordx2 v[45:46], v11, s[4:5] offset:2048
	v_fma_f32 v56, v17, 2.0, -v47
	v_fmac_f32_e32 v43, v24, v62
	v_add_f32_e32 v11, v54, v59
	v_sub_f32_e32 v52, v55, v58
	v_fma_f32 v54, v54, 2.0, -v11
	v_fma_f32 v55, v55, 2.0, -v52
	v_sub_f32_e32 v53, v50, v53
	v_fma_f32 v48, v48, 2.0, -v51
	v_fma_f32 v50, v50, 2.0, -v53
	s_movk_i32 s4, 0x3e7
	v_cmp_lt_u32_e64 s[4:5], s4, v0
	s_waitcnt vmcnt(12)
	v_mul_f32_e32 v17, v19, v21
	v_fma_f32 v24, v18, v20, -v17
	v_mul_f32_e32 v18, v18, v21
	v_fmac_f32_e32 v18, v19, v20
	v_mul_f32_e32 v17, v55, v18
	v_mul_f32_e32 v18, v54, v18
	s_waitcnt vmcnt(10)
	v_mul_f32_e32 v21, v25, v28
	v_mul_f32_e32 v19, v26, v28
	v_fmac_f32_e32 v21, v26, v27
	v_fma_f32 v20, v25, v27, -v19
	v_mul_f32_e32 v19, v61, v21
	v_mul_f32_e32 v21, v60, v21
	s_waitcnt vmcnt(8)
	v_mul_f32_e32 v25, v29, v32
	v_fmac_f32_e32 v19, v60, v20
	v_fma_f32 v20, v61, v20, -v21
	v_mul_f32_e32 v21, v30, v32
	v_fmac_f32_e32 v25, v30, v31
	v_fmac_f32_e32 v17, v54, v24
	v_fma_f32 v18, v55, v24, -v18
	v_fma_f32 v21, v29, v31, -v21
	v_mul_f32_e32 v24, v52, v25
	v_fmac_f32_e32 v24, v11, v21
	v_mul_f32_e32 v11, v11, v25
	v_fma_f32 v25, v52, v21, -v11
	s_waitcnt vmcnt(6)
	v_mul_f32_e32 v21, v33, v36
	v_mul_f32_e32 v11, v34, v36
	v_fmac_f32_e32 v21, v34, v35
	v_fma_f32 v11, v33, v35, -v11
	v_mul_f32_e32 v26, v8, v21
	v_mul_f32_e32 v21, v56, v21
	v_fmac_f32_e32 v26, v56, v11
	v_fma_f32 v27, v8, v11, -v21
	s_waitcnt vmcnt(4)
	v_mul_f32_e32 v11, v37, v40
	v_mul_f32_e32 v8, v38, v40
	v_fmac_f32_e32 v11, v38, v39
	v_fma_f32 v8, v37, v39, -v8
	v_mul_f32_e32 v28, v50, v11
	v_mul_f32_e32 v11, v48, v11
	v_fmac_f32_e32 v28, v48, v8
	v_fma_f32 v29, v50, v8, -v11
	s_waitcnt vmcnt(2)
	v_mul_f32_e32 v8, v13, v42
	v_fma_f32 v8, v12, v41, -v8
	v_mul_f32_e32 v12, v12, v42
	v_fmac_f32_e32 v12, v13, v41
	v_mul_f32_e32 v11, v49, v12
	v_mul_f32_e32 v12, v47, v12
	s_waitcnt vmcnt(0)
	v_mul_f32_e32 v13, v15, v46
	v_fmac_f32_e32 v11, v47, v8
	v_fma_f32 v12, v49, v8, -v12
	v_mul_f32_e32 v8, v16, v46
	v_fmac_f32_e32 v13, v16, v45
	v_mov_b32_e32 v16, 0xc8
	v_cndmask_b32_e64 v16, 0, v16, s[4:5]
	v_add_u32_e32 v7, v7, v16
	v_mul_lo_u32 v21, s16, v7
	v_fma_f32 v8, v15, v45, -v8
	v_mul_f32_e32 v15, v53, v13
	v_mul_f32_e32 v13, v51, v13
	v_fma_f32 v16, v53, v8, -v13
	v_add_u32_e32 v13, 50, v7
	v_mul_lo_u32 v13, s16, v13
	v_fmac_f32_e32 v15, v51, v8
	v_add_lshl_u32 v8, v9, v21, 3
	v_cndmask_b32_e64 v8, -1, v8, s[2:3]
	buffer_store_dwordx2 v[5:6], v8, s[12:15], s17 offen
	v_add_u32_e32 v6, 0x64, v7
	v_add_lshl_u32 v5, v9, v13, 3
	v_mul_lo_u32 v6, s16, v6
	v_cndmask_b32_e64 v5, -1, v5, s[2:3]
	buffer_store_dwordx2 v[3:4], v5, s[12:15], s17 offen
	v_add_u32_e32 v3, 0x96, v7
	v_mul_lo_u32 v3, s16, v3
	v_add_lshl_u32 v4, v9, v6, 3
	v_cndmask_b32_e64 v4, -1, v4, s[2:3]
	s_movk_i32 s4, 0x257
	buffer_store_dwordx2 v[1:2], v4, s[12:15], s17 offen
	v_mov_b32_e32 v2, 0x96
	v_cmp_lt_u32_e64 s[4:5], s4, v0
	v_add_lshl_u32 v1, v9, v3, 3
	v_cndmask_b32_e64 v3, 0, v2, s[4:5]
	v_cndmask_b32_e64 v1, -1, v1, s[2:3]
	v_add_u32_e32 v3, v14, v3
	buffer_store_dwordx2 v[22:23], v1, s[12:15], s17 offen
	v_add_u32_e32 v1, 50, v3
	v_mul_lo_u32 v4, s16, v3
	v_mul_lo_u32 v1, s16, v1
	v_cmp_gt_u32_e64 s[4:5], s6, v0
	v_add_lshl_u32 v4, v9, v4, 3
	v_add_lshl_u32 v1, v9, v1, 3
	v_cndmask_b32_e64 v4, -1, v4, s[2:3]
	v_cndmask_b32_e64 v1, -1, v1, s[2:3]
	buffer_store_dwordx2 v[43:44], v4, s[12:15], s17 offen
	v_add_u32_e32 v4, 0x64, v3
	buffer_store_dwordx2 v[17:18], v1, s[12:15], s17 offen
	v_add_u32_e32 v1, 0x96, v3
	v_mul_lo_u32 v4, s16, v4
	v_mul_lo_u32 v1, s16, v1
	v_add_lshl_u32 v3, v9, v4, 3
	v_add_lshl_u32 v1, v9, v1, 3
	v_cndmask_b32_e64 v3, -1, v3, s[2:3]
	v_cndmask_b32_e64 v1, -1, v1, s[2:3]
	s_movk_i32 s2, 0xc7
	v_cmp_lt_u32_e64 s[2:3], s2, v0
	buffer_store_dwordx2 v[19:20], v3, s[12:15], s17 offen
	buffer_store_dwordx2 v[24:25], v1, s[12:15], s17 offen
	v_cndmask_b32_e64 v1, 0, v2, s[2:3]
	v_add_u32_e32 v1, v10, v1
	v_mul_lo_u32 v2, s16, v1
	v_cndmask_b32_e64 v0, 0, 1, s[4:5]
	v_cndmask_b32_e64 v3, 0, 1, s[0:1]
	s_or_b64 vcc, s[2:3], vcc
	v_cndmask_b32_e32 v0, v3, v0, vcc
	v_add_u32_e32 v3, 50, v1
	v_mul_lo_u32 v3, s16, v3
	v_and_b32_e32 v0, 1, v0
	v_add_lshl_u32 v2, v9, v2, 3
	v_cmp_eq_u32_e32 vcc, 1, v0
	v_cndmask_b32_e32 v0, -1, v2, vcc
	buffer_store_dwordx2 v[26:27], v0, s[12:15], s17 offen
	v_add_lshl_u32 v0, v9, v3, 3
	v_cndmask_b32_e32 v0, -1, v0, vcc
	v_add_u32_e32 v2, 0x64, v1
	buffer_store_dwordx2 v[28:29], v0, s[12:15], s17 offen
	v_add_u32_e32 v0, 0x96, v1
	v_mul_lo_u32 v2, s16, v2
	v_mul_lo_u32 v0, s16, v0
	v_add_lshl_u32 v1, v9, v2, 3
	v_add_lshl_u32 v0, v9, v0, 3
	v_cndmask_b32_e32 v1, -1, v1, vcc
	v_cndmask_b32_e32 v0, -1, v0, vcc
	buffer_store_dwordx2 v[11:12], v1, s[12:15], s17 offen
	buffer_store_dwordx2 v[15:16], v0, s[12:15], s17 offen
	s_endpgm
	.section	.rodata,"a",@progbits
	.p2align	6, 0x0
	.amdhsa_kernel fft_rtc_back_len200_factors_5_5_2_4_wgs_400_tpt_20_halfLds_dim3_sp_ip_CI_sbcc_twdbase8_2step_dirReg_intrinsicReadWrite
		.amdhsa_group_segment_fixed_size 0
		.amdhsa_private_segment_fixed_size 0
		.amdhsa_kernarg_size 88
		.amdhsa_user_sgpr_count 6
		.amdhsa_user_sgpr_private_segment_buffer 1
		.amdhsa_user_sgpr_dispatch_ptr 0
		.amdhsa_user_sgpr_queue_ptr 0
		.amdhsa_user_sgpr_kernarg_segment_ptr 1
		.amdhsa_user_sgpr_dispatch_id 0
		.amdhsa_user_sgpr_flat_scratch_init 0
		.amdhsa_user_sgpr_private_segment_size 0
		.amdhsa_uses_dynamic_stack 0
		.amdhsa_system_sgpr_private_segment_wavefront_offset 0
		.amdhsa_system_sgpr_workgroup_id_x 1
		.amdhsa_system_sgpr_workgroup_id_y 0
		.amdhsa_system_sgpr_workgroup_id_z 0
		.amdhsa_system_sgpr_workgroup_info 0
		.amdhsa_system_vgpr_workitem_id 0
		.amdhsa_next_free_vgpr 63
		.amdhsa_next_free_sgpr 28
		.amdhsa_reserve_vcc 1
		.amdhsa_reserve_flat_scratch 0
		.amdhsa_float_round_mode_32 0
		.amdhsa_float_round_mode_16_64 0
		.amdhsa_float_denorm_mode_32 3
		.amdhsa_float_denorm_mode_16_64 3
		.amdhsa_dx10_clamp 1
		.amdhsa_ieee_mode 1
		.amdhsa_fp16_overflow 0
		.amdhsa_exception_fp_ieee_invalid_op 0
		.amdhsa_exception_fp_denorm_src 0
		.amdhsa_exception_fp_ieee_div_zero 0
		.amdhsa_exception_fp_ieee_overflow 0
		.amdhsa_exception_fp_ieee_underflow 0
		.amdhsa_exception_fp_ieee_inexact 0
		.amdhsa_exception_int_div_zero 0
	.end_amdhsa_kernel
	.text
.Lfunc_end0:
	.size	fft_rtc_back_len200_factors_5_5_2_4_wgs_400_tpt_20_halfLds_dim3_sp_ip_CI_sbcc_twdbase8_2step_dirReg_intrinsicReadWrite, .Lfunc_end0-fft_rtc_back_len200_factors_5_5_2_4_wgs_400_tpt_20_halfLds_dim3_sp_ip_CI_sbcc_twdbase8_2step_dirReg_intrinsicReadWrite
                                        ; -- End function
	.section	.AMDGPU.csdata,"",@progbits
; Kernel info:
; codeLenInByte = 6956
; NumSgprs: 32
; NumVgprs: 63
; ScratchSize: 0
; MemoryBound: 0
; FloatMode: 240
; IeeeMode: 1
; LDSByteSize: 0 bytes/workgroup (compile time only)
; SGPRBlocks: 3
; VGPRBlocks: 15
; NumSGPRsForWavesPerEU: 32
; NumVGPRsForWavesPerEU: 63
; Occupancy: 4
; WaveLimiterHint : 0
; COMPUTE_PGM_RSRC2:SCRATCH_EN: 0
; COMPUTE_PGM_RSRC2:USER_SGPR: 6
; COMPUTE_PGM_RSRC2:TRAP_HANDLER: 0
; COMPUTE_PGM_RSRC2:TGID_X_EN: 1
; COMPUTE_PGM_RSRC2:TGID_Y_EN: 0
; COMPUTE_PGM_RSRC2:TGID_Z_EN: 0
; COMPUTE_PGM_RSRC2:TIDIG_COMP_CNT: 0
	.type	__hip_cuid_24f4c6ab37de74f9,@object ; @__hip_cuid_24f4c6ab37de74f9
	.section	.bss,"aw",@nobits
	.globl	__hip_cuid_24f4c6ab37de74f9
__hip_cuid_24f4c6ab37de74f9:
	.byte	0                               ; 0x0
	.size	__hip_cuid_24f4c6ab37de74f9, 1

	.ident	"AMD clang version 19.0.0git (https://github.com/RadeonOpenCompute/llvm-project roc-6.4.0 25133 c7fe45cf4b819c5991fe208aaa96edf142730f1d)"
	.section	".note.GNU-stack","",@progbits
	.addrsig
	.addrsig_sym __hip_cuid_24f4c6ab37de74f9
	.amdgpu_metadata
---
amdhsa.kernels:
  - .args:
      - .actual_access:  read_only
        .address_space:  global
        .offset:         0
        .size:           8
        .value_kind:     global_buffer
      - .address_space:  global
        .offset:         8
        .size:           8
        .value_kind:     global_buffer
      - .actual_access:  read_only
        .address_space:  global
        .offset:         16
        .size:           8
        .value_kind:     global_buffer
      - .actual_access:  read_only
        .address_space:  global
        .offset:         24
        .size:           8
        .value_kind:     global_buffer
      - .offset:         32
        .size:           8
        .value_kind:     by_value
      - .actual_access:  read_only
        .address_space:  global
        .offset:         40
        .size:           8
        .value_kind:     global_buffer
      - .actual_access:  read_only
        .address_space:  global
        .offset:         48
        .size:           8
        .value_kind:     global_buffer
      - .offset:         56
        .size:           4
        .value_kind:     by_value
      - .actual_access:  read_only
        .address_space:  global
        .offset:         64
        .size:           8
        .value_kind:     global_buffer
      - .actual_access:  read_only
        .address_space:  global
        .offset:         72
        .size:           8
        .value_kind:     global_buffer
      - .address_space:  global
        .offset:         80
        .size:           8
        .value_kind:     global_buffer
    .group_segment_fixed_size: 0
    .kernarg_segment_align: 8
    .kernarg_segment_size: 88
    .language:       OpenCL C
    .language_version:
      - 2
      - 0
    .max_flat_workgroup_size: 400
    .name:           fft_rtc_back_len200_factors_5_5_2_4_wgs_400_tpt_20_halfLds_dim3_sp_ip_CI_sbcc_twdbase8_2step_dirReg_intrinsicReadWrite
    .private_segment_fixed_size: 0
    .sgpr_count:     32
    .sgpr_spill_count: 0
    .symbol:         fft_rtc_back_len200_factors_5_5_2_4_wgs_400_tpt_20_halfLds_dim3_sp_ip_CI_sbcc_twdbase8_2step_dirReg_intrinsicReadWrite.kd
    .uniform_work_group_size: 1
    .uses_dynamic_stack: false
    .vgpr_count:     63
    .vgpr_spill_count: 0
    .wavefront_size: 64
amdhsa.target:   amdgcn-amd-amdhsa--gfx906
amdhsa.version:
  - 1
  - 2
...

	.end_amdgpu_metadata
